;; amdgpu-corpus repo=ROCm/rocFFT kind=compiled arch=gfx1030 opt=O3
	.text
	.amdgcn_target "amdgcn-amd-amdhsa--gfx1030"
	.amdhsa_code_object_version 6
	.protected	fft_rtc_back_len810_factors_3_10_3_3_3_wgs_81_tpt_81_halfLds_dp_ip_CI_unitstride_sbrr_R2C_dirReg ; -- Begin function fft_rtc_back_len810_factors_3_10_3_3_3_wgs_81_tpt_81_halfLds_dp_ip_CI_unitstride_sbrr_R2C_dirReg
	.globl	fft_rtc_back_len810_factors_3_10_3_3_3_wgs_81_tpt_81_halfLds_dp_ip_CI_unitstride_sbrr_R2C_dirReg
	.p2align	8
	.type	fft_rtc_back_len810_factors_3_10_3_3_3_wgs_81_tpt_81_halfLds_dp_ip_CI_unitstride_sbrr_R2C_dirReg,@function
fft_rtc_back_len810_factors_3_10_3_3_3_wgs_81_tpt_81_halfLds_dp_ip_CI_unitstride_sbrr_R2C_dirReg: ; @fft_rtc_back_len810_factors_3_10_3_3_3_wgs_81_tpt_81_halfLds_dp_ip_CI_unitstride_sbrr_R2C_dirReg
; %bb.0:
	s_clause 0x2
	s_load_dwordx4 s[8:11], s[4:5], 0x0
	s_load_dwordx2 s[2:3], s[4:5], 0x50
	s_load_dwordx2 s[12:13], s[4:5], 0x18
	v_mul_u32_u24_e32 v1, 0x32a, v0
	v_mov_b32_e32 v3, 0
	v_add_nc_u32_sdwa v5, s6, v1 dst_sel:DWORD dst_unused:UNUSED_PAD src0_sel:DWORD src1_sel:WORD_1
	v_mov_b32_e32 v1, 0
	v_mov_b32_e32 v6, v3
	v_mov_b32_e32 v2, 0
	s_waitcnt lgkmcnt(0)
	v_cmp_lt_u64_e64 s0, s[10:11], 2
	s_and_b32 vcc_lo, exec_lo, s0
	s_cbranch_vccnz .LBB0_8
; %bb.1:
	s_load_dwordx2 s[0:1], s[4:5], 0x10
	v_mov_b32_e32 v1, 0
	s_add_u32 s6, s12, 8
	v_mov_b32_e32 v2, 0
	s_addc_u32 s7, s13, 0
	s_mov_b64 s[16:17], 1
	s_waitcnt lgkmcnt(0)
	s_add_u32 s14, s0, 8
	s_addc_u32 s15, s1, 0
.LBB0_2:                                ; =>This Inner Loop Header: Depth=1
	s_load_dwordx2 s[18:19], s[14:15], 0x0
                                        ; implicit-def: $vgpr7_vgpr8
	s_mov_b32 s0, exec_lo
	s_waitcnt lgkmcnt(0)
	v_or_b32_e32 v4, s19, v6
	v_cmpx_ne_u64_e32 0, v[3:4]
	s_xor_b32 s1, exec_lo, s0
	s_cbranch_execz .LBB0_4
; %bb.3:                                ;   in Loop: Header=BB0_2 Depth=1
	v_cvt_f32_u32_e32 v4, s18
	v_cvt_f32_u32_e32 v7, s19
	s_sub_u32 s0, 0, s18
	s_subb_u32 s20, 0, s19
	v_fmac_f32_e32 v4, 0x4f800000, v7
	v_rcp_f32_e32 v4, v4
	v_mul_f32_e32 v4, 0x5f7ffffc, v4
	v_mul_f32_e32 v7, 0x2f800000, v4
	v_trunc_f32_e32 v7, v7
	v_fmac_f32_e32 v4, 0xcf800000, v7
	v_cvt_u32_f32_e32 v7, v7
	v_cvt_u32_f32_e32 v4, v4
	v_mul_lo_u32 v8, s0, v7
	v_mul_hi_u32 v9, s0, v4
	v_mul_lo_u32 v10, s20, v4
	v_add_nc_u32_e32 v8, v9, v8
	v_mul_lo_u32 v9, s0, v4
	v_add_nc_u32_e32 v8, v8, v10
	v_mul_hi_u32 v10, v4, v9
	v_mul_lo_u32 v11, v4, v8
	v_mul_hi_u32 v12, v4, v8
	v_mul_hi_u32 v13, v7, v9
	v_mul_lo_u32 v9, v7, v9
	v_mul_hi_u32 v14, v7, v8
	v_mul_lo_u32 v8, v7, v8
	v_add_co_u32 v10, vcc_lo, v10, v11
	v_add_co_ci_u32_e32 v11, vcc_lo, 0, v12, vcc_lo
	v_add_co_u32 v9, vcc_lo, v10, v9
	v_add_co_ci_u32_e32 v9, vcc_lo, v11, v13, vcc_lo
	v_add_co_ci_u32_e32 v10, vcc_lo, 0, v14, vcc_lo
	v_add_co_u32 v8, vcc_lo, v9, v8
	v_add_co_ci_u32_e32 v9, vcc_lo, 0, v10, vcc_lo
	v_add_co_u32 v4, vcc_lo, v4, v8
	v_add_co_ci_u32_e32 v7, vcc_lo, v7, v9, vcc_lo
	v_mul_hi_u32 v8, s0, v4
	v_mul_lo_u32 v10, s20, v4
	v_mul_lo_u32 v9, s0, v7
	v_add_nc_u32_e32 v8, v8, v9
	v_mul_lo_u32 v9, s0, v4
	v_add_nc_u32_e32 v8, v8, v10
	v_mul_hi_u32 v10, v4, v9
	v_mul_lo_u32 v11, v4, v8
	v_mul_hi_u32 v12, v4, v8
	v_mul_hi_u32 v13, v7, v9
	v_mul_lo_u32 v9, v7, v9
	v_mul_hi_u32 v14, v7, v8
	v_mul_lo_u32 v8, v7, v8
	v_add_co_u32 v10, vcc_lo, v10, v11
	v_add_co_ci_u32_e32 v11, vcc_lo, 0, v12, vcc_lo
	v_add_co_u32 v9, vcc_lo, v10, v9
	v_add_co_ci_u32_e32 v9, vcc_lo, v11, v13, vcc_lo
	v_add_co_ci_u32_e32 v10, vcc_lo, 0, v14, vcc_lo
	v_add_co_u32 v8, vcc_lo, v9, v8
	v_add_co_ci_u32_e32 v9, vcc_lo, 0, v10, vcc_lo
	v_add_co_u32 v4, vcc_lo, v4, v8
	v_add_co_ci_u32_e32 v11, vcc_lo, v7, v9, vcc_lo
	v_mul_hi_u32 v13, v5, v4
	v_mad_u64_u32 v[9:10], null, v6, v4, 0
	v_mad_u64_u32 v[7:8], null, v5, v11, 0
	;; [unrolled: 1-line block ×3, first 2 shown]
	v_add_co_u32 v4, vcc_lo, v13, v7
	v_add_co_ci_u32_e32 v7, vcc_lo, 0, v8, vcc_lo
	v_add_co_u32 v4, vcc_lo, v4, v9
	v_add_co_ci_u32_e32 v4, vcc_lo, v7, v10, vcc_lo
	v_add_co_ci_u32_e32 v7, vcc_lo, 0, v12, vcc_lo
	v_add_co_u32 v4, vcc_lo, v4, v11
	v_add_co_ci_u32_e32 v9, vcc_lo, 0, v7, vcc_lo
	v_mul_lo_u32 v10, s19, v4
	v_mad_u64_u32 v[7:8], null, s18, v4, 0
	v_mul_lo_u32 v11, s18, v9
	v_sub_co_u32 v7, vcc_lo, v5, v7
	v_add3_u32 v8, v8, v11, v10
	v_sub_nc_u32_e32 v10, v6, v8
	v_subrev_co_ci_u32_e64 v10, s0, s19, v10, vcc_lo
	v_add_co_u32 v11, s0, v4, 2
	v_add_co_ci_u32_e64 v12, s0, 0, v9, s0
	v_sub_co_u32 v13, s0, v7, s18
	v_sub_co_ci_u32_e32 v8, vcc_lo, v6, v8, vcc_lo
	v_subrev_co_ci_u32_e64 v10, s0, 0, v10, s0
	v_cmp_le_u32_e32 vcc_lo, s18, v13
	v_cmp_eq_u32_e64 s0, s19, v8
	v_cndmask_b32_e64 v13, 0, -1, vcc_lo
	v_cmp_le_u32_e32 vcc_lo, s19, v10
	v_cndmask_b32_e64 v14, 0, -1, vcc_lo
	v_cmp_le_u32_e32 vcc_lo, s18, v7
	;; [unrolled: 2-line block ×3, first 2 shown]
	v_cndmask_b32_e64 v15, 0, -1, vcc_lo
	v_cmp_eq_u32_e32 vcc_lo, s19, v10
	v_cndmask_b32_e64 v7, v15, v7, s0
	v_cndmask_b32_e32 v10, v14, v13, vcc_lo
	v_add_co_u32 v13, vcc_lo, v4, 1
	v_add_co_ci_u32_e32 v14, vcc_lo, 0, v9, vcc_lo
	v_cmp_ne_u32_e32 vcc_lo, 0, v10
	v_cndmask_b32_e32 v8, v14, v12, vcc_lo
	v_cndmask_b32_e32 v10, v13, v11, vcc_lo
	v_cmp_ne_u32_e32 vcc_lo, 0, v7
	v_cndmask_b32_e32 v8, v9, v8, vcc_lo
	v_cndmask_b32_e32 v7, v4, v10, vcc_lo
.LBB0_4:                                ;   in Loop: Header=BB0_2 Depth=1
	s_andn2_saveexec_b32 s0, s1
	s_cbranch_execz .LBB0_6
; %bb.5:                                ;   in Loop: Header=BB0_2 Depth=1
	v_cvt_f32_u32_e32 v4, s18
	s_sub_i32 s1, 0, s18
	v_rcp_iflag_f32_e32 v4, v4
	v_mul_f32_e32 v4, 0x4f7ffffe, v4
	v_cvt_u32_f32_e32 v4, v4
	v_mul_lo_u32 v7, s1, v4
	v_mul_hi_u32 v7, v4, v7
	v_add_nc_u32_e32 v4, v4, v7
	v_mul_hi_u32 v4, v5, v4
	v_mul_lo_u32 v7, v4, s18
	v_add_nc_u32_e32 v8, 1, v4
	v_sub_nc_u32_e32 v7, v5, v7
	v_subrev_nc_u32_e32 v9, s18, v7
	v_cmp_le_u32_e32 vcc_lo, s18, v7
	v_cndmask_b32_e32 v7, v7, v9, vcc_lo
	v_cndmask_b32_e32 v4, v4, v8, vcc_lo
	v_cmp_le_u32_e32 vcc_lo, s18, v7
	v_add_nc_u32_e32 v8, 1, v4
	v_cndmask_b32_e32 v7, v4, v8, vcc_lo
	v_mov_b32_e32 v8, v3
.LBB0_6:                                ;   in Loop: Header=BB0_2 Depth=1
	s_or_b32 exec_lo, exec_lo, s0
	s_load_dwordx2 s[0:1], s[6:7], 0x0
	v_mul_lo_u32 v4, v8, s18
	v_mul_lo_u32 v11, v7, s19
	v_mad_u64_u32 v[9:10], null, v7, s18, 0
	s_add_u32 s16, s16, 1
	s_addc_u32 s17, s17, 0
	s_add_u32 s6, s6, 8
	s_addc_u32 s7, s7, 0
	;; [unrolled: 2-line block ×3, first 2 shown]
	v_add3_u32 v4, v10, v11, v4
	v_sub_co_u32 v5, vcc_lo, v5, v9
	v_sub_co_ci_u32_e32 v4, vcc_lo, v6, v4, vcc_lo
	s_waitcnt lgkmcnt(0)
	v_mul_lo_u32 v6, s1, v5
	v_mul_lo_u32 v4, s0, v4
	v_mad_u64_u32 v[1:2], null, s0, v5, v[1:2]
	v_cmp_ge_u64_e64 s0, s[16:17], s[10:11]
	s_and_b32 vcc_lo, exec_lo, s0
	v_add3_u32 v2, v6, v2, v4
	s_cbranch_vccnz .LBB0_9
; %bb.7:                                ;   in Loop: Header=BB0_2 Depth=1
	v_mov_b32_e32 v5, v7
	v_mov_b32_e32 v6, v8
	s_branch .LBB0_2
.LBB0_8:
	v_mov_b32_e32 v8, v6
	v_mov_b32_e32 v7, v5
.LBB0_9:
	s_lshl_b64 s[0:1], s[10:11], 3
	v_mul_hi_u32 v3, 0x3291620, v0
	s_add_u32 s0, s12, s0
	s_addc_u32 s1, s13, s1
	s_load_dwordx2 s[4:5], s[4:5], 0x20
	s_load_dwordx2 s[0:1], s[0:1], 0x0
	v_mul_u32_u24_e32 v3, 0x51, v3
	v_sub_nc_u32_e32 v48, v0, v3
	v_add_nc_u32_e32 v50, 0x51, v48
	v_add_nc_u32_e32 v55, 0xa2, v48
	;; [unrolled: 1-line block ×3, first 2 shown]
	s_waitcnt lgkmcnt(0)
	v_cmp_gt_u64_e32 vcc_lo, s[4:5], v[7:8]
	v_mul_lo_u32 v3, s0, v8
	v_mul_lo_u32 v4, s1, v7
	v_mad_u64_u32 v[0:1], null, s0, v7, v[1:2]
	v_cmp_le_u64_e64 s0, s[4:5], v[7:8]
	v_add3_u32 v1, v4, v1, v3
	s_and_saveexec_b32 s1, s0
	s_xor_b32 s0, exec_lo, s1
; %bb.10:
	v_add_nc_u32_e32 v50, 0x51, v48
	v_add_nc_u32_e32 v55, 0xa2, v48
	;; [unrolled: 1-line block ×3, first 2 shown]
; %bb.11:
	s_or_saveexec_b32 s1, s0
	v_lshlrev_b64 v[52:53], 4, v[0:1]
	v_lshl_add_u32 v60, v48, 4, 0
	s_xor_b32 exec_lo, exec_lo, s1
	s_cbranch_execz .LBB0_13
; %bb.12:
	v_mov_b32_e32 v49, 0
	v_add_co_u32 v2, s0, s2, v52
	v_add_co_ci_u32_e64 v3, s0, s3, v53, s0
	v_lshlrev_b64 v[0:1], 4, v[48:49]
	v_add_co_u32 v16, s0, v2, v0
	v_add_co_ci_u32_e64 v17, s0, v3, v1, s0
	s_clause 0x1
	global_load_dwordx4 v[0:3], v[16:17], off
	global_load_dwordx4 v[4:7], v[16:17], off offset:1296
	v_add_co_u32 v12, s0, 0x800, v16
	v_add_co_ci_u32_e64 v13, s0, 0, v17, s0
	v_add_co_u32 v18, s0, 0x1000, v16
	v_add_co_ci_u32_e64 v19, s0, 0, v17, s0
	;; [unrolled: 2-line block ×5, first 2 shown]
	s_clause 0x7
	global_load_dwordx4 v[8:11], v[12:13], off offset:544
	global_load_dwordx4 v[12:15], v[12:13], off offset:1840
	;; [unrolled: 1-line block ×8, first 2 shown]
	s_waitcnt vmcnt(9)
	ds_write_b128 v60, v[0:3]
	s_waitcnt vmcnt(8)
	ds_write_b128 v60, v[4:7] offset:1296
	s_waitcnt vmcnt(7)
	ds_write_b128 v60, v[8:11] offset:2592
	;; [unrolled: 2-line block ×9, first 2 shown]
.LBB0_13:
	s_or_b32 exec_lo, exec_lo, s1
	s_waitcnt lgkmcnt(0)
	s_barrier
	buffer_gl0_inv
	ds_read_b128 v[0:3], v60 offset:8640
	ds_read_b128 v[4:7], v60 offset:4320
	ds_read_b128 v[20:23], v60 offset:5616
	ds_read_b128 v[24:27], v60 offset:9936
	ds_read_b128 v[28:31], v60 offset:11232
	ds_read_b128 v[32:35], v60 offset:6912
	ds_read_b128 v[12:15], v60 offset:8208
	ds_read_b128 v[8:11], v60 offset:12528
	ds_read_b128 v[36:39], v60
	ds_read_b128 v[40:43], v60 offset:1296
	ds_read_b128 v[44:47], v60 offset:2592
	;; [unrolled: 1-line block ×3, first 2 shown]
	s_mov_b32 s0, 0xe8584caa
	s_mov_b32 s1, 0xbfebb67a
	;; [unrolled: 1-line block ×4, first 2 shown]
	v_mad_i32_i24 v49, v50, 48, 0
	v_mad_i32_i24 v51, v55, 48, 0
	s_waitcnt lgkmcnt(0)
	s_barrier
	buffer_gl0_inv
	v_add_f64 v[56:57], v[4:5], v[0:1]
	v_add_f64 v[58:59], v[6:7], v[2:3]
	;; [unrolled: 1-line block ×10, first 2 shown]
	v_add_f64 v[6:7], v[6:7], -v[2:3]
	v_add_f64 v[4:5], v[4:5], -v[0:1]
	v_add_f64 v[89:90], v[14:15], -v[10:11]
	v_add_f64 v[91:92], v[12:13], -v[8:9]
	v_add_f64 v[77:78], v[40:41], v[20:21]
	v_add_f64 v[79:80], v[42:43], v[22:23]
	;; [unrolled: 1-line block ×4, first 2 shown]
	v_add_f64 v[85:86], v[34:35], -v[30:31]
	v_add_f64 v[87:88], v[32:33], -v[28:29]
	v_fma_f64 v[36:37], v[56:57], -0.5, v[36:37]
	v_fma_f64 v[38:39], v[58:59], -0.5, v[38:39]
	v_add_f64 v[56:57], v[22:23], -v[26:27]
	v_fma_f64 v[58:59], v[61:62], -0.5, v[40:41]
	v_add_f64 v[61:62], v[20:21], -v[24:25]
	v_fma_f64 v[63:64], v[63:64], -0.5, v[42:43]
	v_fma_f64 v[69:70], v[69:70], -0.5, v[16:17]
	;; [unrolled: 1-line block ×5, first 2 shown]
	v_add_f64 v[20:21], v[73:74], v[0:1]
	v_add_f64 v[22:23], v[75:76], v[2:3]
	;; [unrolled: 1-line block ×6, first 2 shown]
	v_fma_f64 v[32:33], v[6:7], s[0:1], v[36:37]
	v_fma_f64 v[36:37], v[6:7], s[4:5], v[36:37]
	;; [unrolled: 1-line block ×16, first 2 shown]
	v_lshl_add_u32 v65, v48, 5, v60
	v_cmp_gt_u32_e64 s0, 27, v48
	ds_write_b128 v65, v[20:23]
	ds_write_b128 v65, v[32:35] offset:16
	ds_write_b128 v65, v[36:39] offset:32
	ds_write_b128 v49, v[24:27]
	ds_write_b128 v49, v[40:43] offset:16
	ds_write_b128 v49, v[44:47] offset:32
	;; [unrolled: 3-line block ×3, first 2 shown]
	s_and_saveexec_b32 s1, s0
	s_cbranch_execz .LBB0_15
; %bb.14:
	v_add_f64 v[14:15], v[18:19], v[14:15]
	v_add_f64 v[12:13], v[16:17], v[12:13]
	;; [unrolled: 1-line block ×4, first 2 shown]
	v_mad_i32_i24 v12, v54, 48, 0
	ds_write_b128 v12, v[0:3] offset:16
	ds_write_b128 v12, v[8:11]
	ds_write_b128 v12, v[4:7] offset:32
.LBB0_15:
	s_or_b32 exec_lo, exec_lo, s1
	v_and_b32_e32 v58, 0xff, v48
	v_mov_b32_e32 v9, 9
	s_waitcnt lgkmcnt(0)
	s_barrier
	buffer_gl0_inv
	v_mul_lo_u16 v8, 0xab, v58
	v_lshlrev_b32_e32 v56, 5, v50
	v_lshlrev_b32_e32 v57, 5, v55
	v_lshl_add_u32 v61, v54, 4, 0
	s_mov_b32 s10, 0x134454ff
	v_lshrrev_b16 v12, 9, v8
	s_mov_b32 s11, 0xbfee6f0e
	v_sub_nc_u32_e32 v15, v51, v57
	s_mov_b32 s5, 0x3fee6f0e
	s_mov_b32 s4, s10
	v_mul_lo_u16 v8, v12, 3
	s_mov_b32 s14, 0x4755a5e
	s_mov_b32 s15, 0xbfe2cf23
	;; [unrolled: 1-line block ×4, first 2 shown]
	v_sub_nc_u16 v13, v48, v8
	s_mov_b32 s12, 0x372fe950
	s_mov_b32 s13, 0x3fd3c6ef
	;; [unrolled: 1-line block ×4, first 2 shown]
	v_mul_u32_u24_sdwa v8, v13, v9 dst_sel:DWORD dst_unused:UNUSED_PAD src0_sel:BYTE_0 src1_sel:DWORD
	s_mov_b32 s19, 0xbfd3c6ef
	s_mov_b32 s18, s12
	s_mov_b32 s21, 0xbfe9e377
	s_mov_b32 s20, s16
	v_lshlrev_b32_e32 v14, 4, v8
	v_mov_b32_e32 v59, 4
	s_clause 0x8
	global_load_dwordx4 v[8:11], v14, s[8:9]
	global_load_dwordx4 v[16:19], v14, s[8:9] offset:16
	global_load_dwordx4 v[20:23], v14, s[8:9] offset:48
	;; [unrolled: 1-line block ×8, first 2 shown]
	v_sub_nc_u32_e32 v14, v49, v56
	v_lshlrev_b32_sdwa v13, v59, v13 dst_sel:DWORD dst_unused:UNUSED_PAD src0_sel:DWORD src1_sel:BYTE_0
	ds_read_b128 v[62:65], v14
	ds_read_b128 v[66:69], v15
	;; [unrolled: 1-line block ×3, first 2 shown]
	ds_read_b128 v[74:77], v60 offset:5184
	ds_read_b128 v[78:81], v60 offset:7776
	ds_read_b128 v[82:85], v60
	s_waitcnt vmcnt(8) lgkmcnt(5)
	v_mul_f64 v[86:87], v[64:65], v[10:11]
	v_mul_f64 v[10:11], v[62:63], v[10:11]
	s_waitcnt vmcnt(7) lgkmcnt(4)
	v_mul_f64 v[88:89], v[68:69], v[18:19]
	s_waitcnt vmcnt(6) lgkmcnt(2)
	v_mul_f64 v[90:91], v[76:77], v[22:23]
	v_mul_f64 v[18:19], v[66:67], v[18:19]
	;; [unrolled: 1-line block ×3, first 2 shown]
	v_fma_f64 v[86:87], v[62:63], v[8:9], v[86:87]
	v_fma_f64 v[92:93], v[64:65], v[8:9], -v[10:11]
	ds_read_b128 v[8:11], v60 offset:10368
	ds_read_b128 v[62:65], v60 offset:6480
	v_fma_f64 v[66:67], v[66:67], v[16:17], v[88:89]
	s_waitcnt vmcnt(5) lgkmcnt(3)
	v_mul_f64 v[88:89], v[80:81], v[26:27]
	v_mul_f64 v[26:27], v[78:79], v[26:27]
	v_fma_f64 v[74:75], v[74:75], v[20:21], v[90:91]
	v_fma_f64 v[68:69], v[68:69], v[16:17], -v[18:19]
	ds_read_b128 v[16:19], v60 offset:9072
	v_fma_f64 v[76:77], v[76:77], v[20:21], -v[22:23]
	ds_read_b128 v[20:23], v60 offset:11664
	s_waitcnt vmcnt(0) lgkmcnt(0)
	s_barrier
	buffer_gl0_inv
	v_mul_f64 v[90:91], v[10:11], v[30:31]
	v_mul_f64 v[30:31], v[8:9], v[30:31]
	v_fma_f64 v[78:79], v[78:79], v[24:25], v[88:89]
	v_fma_f64 v[24:25], v[80:81], v[24:25], -v[26:27]
	v_mul_f64 v[26:27], v[72:73], v[34:35]
	v_mul_f64 v[34:35], v[70:71], v[34:35]
	;; [unrolled: 1-line block ×4, first 2 shown]
	v_fma_f64 v[8:9], v[8:9], v[28:29], v[90:91]
	v_fma_f64 v[10:11], v[10:11], v[28:29], -v[30:31]
	v_mul_f64 v[28:29], v[22:23], v[46:47]
	v_mul_f64 v[30:31], v[62:63], v[38:39]
	;; [unrolled: 1-line block ×4, first 2 shown]
	v_fma_f64 v[26:27], v[70:71], v[32:33], v[26:27]
	v_fma_f64 v[32:33], v[72:73], v[32:33], -v[34:35]
	v_fma_f64 v[34:35], v[62:63], v[36:37], v[80:81]
	v_fma_f64 v[16:17], v[16:17], v[40:41], v[88:89]
	v_add_f64 v[62:63], v[76:77], v[24:25]
	v_add_f64 v[72:73], v[68:69], -v[76:77]
	v_add_f64 v[88:89], v[76:77], -v[68:69]
	v_add_f64 v[46:47], v[66:67], v[8:9]
	v_add_f64 v[70:71], v[68:69], v[10:11]
	v_fma_f64 v[20:21], v[20:21], v[44:45], v[28:29]
	v_add_f64 v[28:29], v[74:75], v[78:79]
	v_fma_f64 v[30:31], v[64:65], v[36:37], -v[30:31]
	v_fma_f64 v[18:19], v[18:19], v[40:41], -v[38:39]
	v_fma_f64 v[22:23], v[22:23], v[44:45], -v[42:43]
	v_add_f64 v[36:37], v[82:83], v[66:67]
	v_add_f64 v[38:39], v[66:67], -v[74:75]
	v_add_f64 v[40:41], v[8:9], -v[78:79]
	v_add_f64 v[42:43], v[74:75], -v[66:67]
	v_add_f64 v[44:45], v[84:85], v[68:69]
	v_add_f64 v[64:65], v[78:79], -v[8:9]
	v_add_f64 v[80:81], v[10:11], -v[24:25]
	;; [unrolled: 1-line block ×4, first 2 shown]
	v_fma_f64 v[62:63], v[62:63], -0.5, v[84:85]
	v_add_f64 v[68:69], v[68:69], -v[10:11]
	v_add_f64 v[66:67], v[66:67], -v[8:9]
	v_fma_f64 v[46:47], v[46:47], -0.5, v[82:83]
	v_fma_f64 v[70:71], v[70:71], -0.5, v[84:85]
	v_add_f64 v[96:97], v[20:21], -v[16:17]
	v_fma_f64 v[28:29], v[28:29], -0.5, v[82:83]
	v_add_f64 v[82:83], v[34:35], -v[26:27]
	v_add_f64 v[84:85], v[16:17], -v[20:21]
	v_add_f64 v[36:37], v[36:37], v[74:75]
	v_add_f64 v[74:75], v[74:75], -v[78:79]
	v_add_f64 v[38:39], v[38:39], v[40:41]
	;; [unrolled: 2-line block ×3, first 2 shown]
	v_add_f64 v[42:43], v[42:43], v[64:65]
	v_add_f64 v[64:65], v[22:23], -v[18:19]
	v_add_f64 v[72:73], v[72:73], v[80:81]
	v_add_f64 v[80:81], v[30:31], -v[32:33]
	;; [unrolled: 2-line block ×3, first 2 shown]
	v_add_f64 v[76:77], v[76:77], -v[24:25]
	v_add_f64 v[94:95], v[94:95], v[96:97]
	v_add_f64 v[96:97], v[34:35], v[16:17]
	;; [unrolled: 1-line block ×10, first 2 shown]
	v_fma_f64 v[96:97], v[96:97], -0.5, v[86:87]
	v_fma_f64 v[84:85], v[84:85], -0.5, v[86:87]
	v_add_f64 v[86:87], v[86:87], v[26:27]
	v_add_f64 v[26:27], v[26:27], -v[20:21]
	v_add_f64 v[8:9], v[36:37], v[8:9]
	v_add_f64 v[10:11], v[24:25], v[10:11]
	v_fma_f64 v[64:65], v[64:65], -0.5, v[92:93]
	v_fma_f64 v[90:91], v[90:91], -0.5, v[92:93]
	v_add_f64 v[92:93], v[92:93], v[32:33]
	v_add_f64 v[32:33], v[32:33], -v[22:23]
	v_add_f64 v[86:87], v[86:87], v[34:35]
	v_add_f64 v[34:35], v[34:35], -v[16:17]
	v_fma_f64 v[78:79], v[26:27], s[4:5], v[64:65]
	v_fma_f64 v[64:65], v[26:27], s[10:11], v[64:65]
	v_add_f64 v[92:93], v[92:93], v[30:31]
	v_add_f64 v[30:31], v[30:31], -v[18:19]
	v_add_f64 v[16:17], v[86:87], v[16:17]
	v_fma_f64 v[44:45], v[34:35], s[10:11], v[90:91]
	v_fma_f64 v[90:91], v[34:35], s[4:5], v[90:91]
	;; [unrolled: 1-line block ×6, first 2 shown]
	v_add_f64 v[18:19], v[92:93], v[18:19]
	v_add_f64 v[20:21], v[16:17], v[20:21]
	v_fma_f64 v[44:45], v[26:27], s[6:7], v[44:45]
	v_fma_f64 v[26:27], v[26:27], s[14:15], v[90:91]
	;; [unrolled: 1-line block ×12, first 2 shown]
	v_add_f64 v[22:23], v[18:19], v[22:23]
	v_add_f64 v[16:17], v[8:9], v[20:21]
	v_fma_f64 v[44:45], v[80:81], s[12:13], v[44:45]
	v_fma_f64 v[26:27], v[80:81], s[12:13], v[26:27]
	;; [unrolled: 1-line block ×14, first 2 shown]
	v_add_f64 v[18:19], v[10:11], v[22:23]
	v_add_f64 v[20:21], v[8:9], -v[20:21]
	v_add_f64 v[22:23], v[10:11], -v[22:23]
	v_fma_f64 v[74:75], v[82:83], s[12:13], v[90:91]
	v_fma_f64 v[32:33], v[82:83], s[12:13], v[32:33]
	;; [unrolled: 1-line block ×5, first 2 shown]
	v_mul_f64 v[80:81], v[78:79], s[14:15]
	v_mul_f64 v[78:79], v[78:79], s[16:17]
	;; [unrolled: 1-line block ×3, first 2 shown]
	v_fma_f64 v[66:67], v[66:67], s[14:15], v[70:71]
	v_mul_f64 v[70:71], v[34:35], s[14:15]
	v_mul_f64 v[44:45], v[44:45], s[12:13]
	;; [unrolled: 1-line block ×5, first 2 shown]
	v_fma_f64 v[36:37], v[38:39], s[12:13], v[86:87]
	v_fma_f64 v[86:87], v[38:39], s[12:13], v[28:29]
	;; [unrolled: 1-line block ×16, first 2 shown]
	v_mov_b32_e32 v82, 0x1e0
	v_mul_u32_u24_sdwa v12, v12, v82 dst_sel:DWORD dst_unused:UNUSED_PAD src0_sel:WORD_0 src1_sel:DWORD
	v_add3_u32 v12, 0, v12, v13
	v_add_f64 v[24:25], v[36:37], v[40:41]
	v_add_f64 v[26:27], v[38:39], v[42:43]
	;; [unrolled: 1-line block ×3, first 2 shown]
	v_add_f64 v[36:37], v[36:37], -v[40:41]
	v_add_f64 v[38:39], v[38:39], -v[42:43]
	v_add_f64 v[30:31], v[64:65], v[70:71]
	v_add_f64 v[32:33], v[46:47], v[80:81]
	;; [unrolled: 1-line block ×5, first 2 shown]
	v_add_f64 v[44:45], v[76:77], -v[62:63]
	v_add_f64 v[62:63], v[46:47], -v[80:81]
	;; [unrolled: 1-line block ×6, first 2 shown]
	ds_write_b128 v12, v[16:19]
	ds_write_b128 v12, v[20:23] offset:240
	ds_write_b128 v12, v[24:27] offset:48
	;; [unrolled: 1-line block ×9, first 2 shown]
	s_waitcnt lgkmcnt(0)
	s_barrier
	buffer_gl0_inv
	ds_read_b128 v[16:19], v60
	ds_read_b128 v[44:47], v60 offset:4320
	ds_read_b128 v[40:43], v60 offset:8640
	;; [unrolled: 1-line block ×3, first 2 shown]
	ds_read_b128 v[20:23], v14
	ds_read_b128 v[12:15], v15
	ds_read_b128 v[36:39], v60 offset:5616
	ds_read_b128 v[28:31], v60 offset:6912
	;; [unrolled: 1-line block ×3, first 2 shown]
	s_and_saveexec_b32 s1, s0
	s_cbranch_execz .LBB0_17
; %bb.16:
	ds_read_b128 v[8:11], v61
	ds_read_b128 v[0:3], v60 offset:8208
	ds_read_b128 v[4:7], v60 offset:12528
.LBB0_17:
	s_or_b32 exec_lo, exec_lo, s1
	v_mul_lo_u16 v58, 0x89, v58
	v_mov_b32_e32 v62, 5
	v_mov_b32_e32 v69, 0x8889
	s_mov_b32 s4, 0xe8584caa
	s_mov_b32 s5, 0xbfebb67a
	v_lshrrev_b16 v99, 12, v58
	s_mov_b32 s7, 0x3febb67a
	v_mul_u32_u24_sdwa v72, v54, v69 dst_sel:DWORD dst_unused:UNUSED_PAD src0_sel:WORD_0 src1_sel:DWORD
	s_mov_b32 s6, s4
	v_mul_lo_u16 v58, v99, 30
	v_lshrrev_b32_e32 v76, 20, v72
	v_sub_nc_u16 v100, v48, v58
	v_and_b32_e32 v58, 0xff, v50
	v_mul_lo_u16 v76, v76, 30
	v_lshlrev_b32_sdwa v67, v62, v100 dst_sel:DWORD dst_unused:UNUSED_PAD src0_sel:DWORD src1_sel:BYTE_0
	v_mul_lo_u16 v58, 0x89, v58
	v_sub_nc_u16 v76, v54, v76
	global_load_dwordx4 v[63:66], v67, s[8:9] offset:432
	v_lshrrev_b16 v101, 12, v58
	v_and_b32_e32 v58, 0xff, v55
	v_mul_lo_u16 v68, v101, 30
	v_mul_lo_u16 v71, 0x89, v58
	v_sub_nc_u16 v102, v50, v68
	v_lshrrev_b16 v103, 12, v71
	v_lshlrev_b32_sdwa v75, v62, v102 dst_sel:DWORD dst_unused:UNUSED_PAD src0_sel:DWORD src1_sel:BYTE_0
	v_mul_lo_u16 v77, v103, 30
	s_clause 0x1
	global_load_dwordx4 v[71:74], v75, s[8:9] offset:432
	global_load_dwordx4 v[67:70], v67, s[8:9] offset:448
	v_sub_nc_u16 v104, v55, v77
	v_lshlrev_b32_sdwa v83, v62, v104 dst_sel:DWORD dst_unused:UNUSED_PAD src0_sel:DWORD src1_sel:BYTE_0
	v_and_b32_e32 v62, 0xffff, v76
	s_clause 0x1
	global_load_dwordx4 v[75:78], v75, s[8:9] offset:448
	global_load_dwordx4 v[79:82], v83, s[8:9] offset:432
	v_lshlrev_b32_e32 v91, 5, v62
	s_clause 0x2
	global_load_dwordx4 v[83:86], v83, s[8:9] offset:448
	global_load_dwordx4 v[87:90], v91, s[8:9] offset:432
	;; [unrolled: 1-line block ×3, first 2 shown]
	s_waitcnt vmcnt(0) lgkmcnt(0)
	s_barrier
	buffer_gl0_inv
	v_mul_f64 v[95:96], v[46:47], v[65:66]
	v_mul_f64 v[65:66], v[44:45], v[65:66]
	v_mul_f64 v[97:98], v[42:43], v[69:70]
	v_mul_f64 v[69:70], v[40:41], v[69:70]
	v_fma_f64 v[44:45], v[44:45], v[63:64], v[95:96]
	v_fma_f64 v[46:47], v[46:47], v[63:64], -v[65:66]
	v_mul_f64 v[63:64], v[38:39], v[73:74]
	v_mul_f64 v[65:66], v[36:37], v[73:74]
	v_mul_f64 v[73:74], v[26:27], v[77:78]
	v_mul_f64 v[77:78], v[24:25], v[77:78]
	v_fma_f64 v[40:41], v[40:41], v[67:68], v[97:98]
	v_fma_f64 v[42:43], v[42:43], v[67:68], -v[69:70]
	;; [unrolled: 6-line block ×4, first 2 shown]
	v_add_f64 v[73:74], v[16:17], v[44:45]
	v_add_f64 v[77:78], v[18:19], v[46:47]
	v_mov_b32_e32 v97, 0x5a0
	v_fma_f64 v[28:29], v[28:29], v[79:80], v[67:68]
	v_fma_f64 v[30:31], v[30:31], v[79:80], -v[69:70]
	v_fma_f64 v[32:33], v[32:33], v[83:84], v[81:82]
	v_fma_f64 v[34:35], v[34:35], v[83:84], -v[85:86]
	v_add_f64 v[83:84], v[20:21], v[36:37]
	v_add_f64 v[85:86], v[22:23], v[38:39]
	v_fma_f64 v[0:1], v[0:1], v[87:88], v[63:64]
	v_fma_f64 v[63:64], v[4:5], v[91:92], v[65:66]
	v_fma_f64 v[2:3], v[2:3], v[87:88], -v[71:72]
	v_fma_f64 v[65:66], v[6:7], v[91:92], -v[89:90]
	v_sub_nc_u32_e32 v5, 0, v56
	v_sub_nc_u32_e32 v4, 0, v57
	v_add_f64 v[6:7], v[44:45], v[40:41]
	v_add_f64 v[56:57], v[46:47], v[42:43]
	;; [unrolled: 1-line block ×4, first 2 shown]
	v_add_f64 v[46:47], v[46:47], -v[42:43]
	v_add_f64 v[44:45], v[44:45], -v[40:41]
	;; [unrolled: 1-line block ×3, first 2 shown]
	v_add_f64 v[87:88], v[12:13], v[28:29]
	v_add_f64 v[89:90], v[14:15], v[30:31]
	;; [unrolled: 1-line block ×8, first 2 shown]
	v_add_f64 v[95:96], v[2:3], -v[65:66]
	v_fma_f64 v[16:17], v[6:7], -0.5, v[16:17]
	v_fma_f64 v[18:19], v[56:57], -0.5, v[18:19]
	v_add_f64 v[56:57], v[36:37], -v[24:25]
	v_fma_f64 v[20:21], v[67:68], -0.5, v[20:21]
	v_fma_f64 v[22:23], v[69:70], -0.5, v[22:23]
	v_add_f64 v[6:7], v[73:74], v[40:41]
	v_add_f64 v[67:68], v[30:31], -v[34:35]
	v_add_f64 v[69:70], v[28:29], -v[32:33]
	v_fma_f64 v[71:72], v[71:72], -0.5, v[12:13]
	v_fma_f64 v[14:15], v[75:76], -0.5, v[14:15]
	v_add_f64 v[75:76], v[0:1], -v[63:64]
	v_add_f64 v[12:13], v[85:86], v[26:27]
	v_add_f64 v[26:27], v[89:90], v[34:35]
	v_fma_f64 v[79:80], v[79:80], -0.5, v[8:9]
	v_add_f64 v[8:9], v[77:78], v[42:43]
	v_fma_f64 v[73:74], v[81:82], -0.5, v[10:11]
	v_add_f64 v[10:11], v[83:84], v[24:25]
	v_add_f64 v[24:25], v[87:88], v[32:33]
	;; [unrolled: 1-line block ×4, first 2 shown]
	v_fma_f64 v[28:29], v[46:47], s[4:5], v[16:17]
	v_fma_f64 v[32:33], v[46:47], s[6:7], v[16:17]
	;; [unrolled: 1-line block ×8, first 2 shown]
	v_mul_u32_u24_sdwa v56, v101, v97 dst_sel:DWORD dst_unused:UNUSED_PAD src0_sel:WORD_0 src1_sel:DWORD
	v_lshlrev_b32_sdwa v57, v59, v102 dst_sel:DWORD dst_unused:UNUSED_PAD src0_sel:DWORD src1_sel:BYTE_0
	v_fma_f64 v[44:45], v[67:68], s[4:5], v[71:72]
	v_fma_f64 v[46:47], v[69:70], s[6:7], v[14:15]
	;; [unrolled: 1-line block ×4, first 2 shown]
	v_mul_u32_u24_sdwa v14, v99, v97 dst_sel:DWORD dst_unused:UNUSED_PAD src0_sel:WORD_0 src1_sel:DWORD
	v_fma_f64 v[16:17], v[95:96], s[4:5], v[79:80]
	v_fma_f64 v[20:21], v[95:96], s[6:7], v[79:80]
	;; [unrolled: 1-line block ×4, first 2 shown]
	v_lshlrev_b32_sdwa v15, v59, v100 dst_sel:DWORD dst_unused:UNUSED_PAD src0_sel:DWORD src1_sel:BYTE_0
	v_lshlrev_b32_sdwa v59, v59, v104 dst_sel:DWORD dst_unused:UNUSED_PAD src0_sel:DWORD src1_sel:BYTE_0
	v_add3_u32 v56, 0, v56, v57
	v_add3_u32 v14, 0, v14, v15
	v_mul_u32_u24_sdwa v15, v103, v97 dst_sel:DWORD dst_unused:UNUSED_PAD src0_sel:WORD_0 src1_sel:DWORD
	ds_write_b128 v14, v[6:9]
	ds_write_b128 v14, v[28:31] offset:480
	v_add3_u32 v6, 0, v15, v59
	ds_write_b128 v14, v[32:35] offset:960
	ds_write_b128 v56, v[10:13]
	ds_write_b128 v56, v[36:39] offset:480
	ds_write_b128 v56, v[40:43] offset:960
	ds_write_b128 v6, v[24:27]
	ds_write_b128 v6, v[44:47] offset:480
	ds_write_b128 v6, v[63:66] offset:960
	s_and_saveexec_b32 s1, s0
	s_cbranch_execz .LBB0_19
; %bb.18:
	v_lshl_add_u32 v6, v62, 4, 0
	ds_write_b128 v6, v[0:3] offset:11520
	ds_write_b128 v6, v[16:19] offset:12000
	;; [unrolled: 1-line block ×3, first 2 shown]
.LBB0_19:
	s_or_b32 exec_lo, exec_lo, s1
	v_add_nc_u32_e32 v63, v49, v5
	s_waitcnt lgkmcnt(0)
	s_barrier
	buffer_gl0_inv
	v_add_nc_u32_e32 v62, v51, v4
	ds_read_b128 v[8:11], v60
	ds_read_b128 v[44:47], v60 offset:4320
	ds_read_b128 v[40:43], v60 offset:8640
	;; [unrolled: 1-line block ×3, first 2 shown]
	ds_read_b128 v[4:7], v63
	ds_read_b128 v[12:15], v62
	ds_read_b128 v[28:31], v60 offset:5616
	ds_read_b128 v[36:39], v60 offset:6912
	;; [unrolled: 1-line block ×3, first 2 shown]
	s_and_saveexec_b32 s1, s0
	s_cbranch_execz .LBB0_21
; %bb.20:
	ds_read_b128 v[0:3], v61
	ds_read_b128 v[16:19], v60 offset:8208
	ds_read_b128 v[20:23], v60 offset:12528
.LBB0_21:
	s_or_b32 exec_lo, exec_lo, s1
	v_mul_lo_u16 v49, 0xb7, v58
	v_lshlrev_b32_e32 v76, 1, v48
	v_mov_b32_e32 v77, 0
	v_mov_b32_e32 v51, 0x2d83
	;; [unrolled: 1-line block ×3, first 2 shown]
	v_lshrrev_b16 v100, 14, v49
	v_add_nc_u32_e32 v59, -9, v48
	v_lshlrev_b64 v[56:57], 4, v[76:77]
	v_mul_u32_u24_sdwa v51, v54, v51 dst_sel:DWORD dst_unused:UNUSED_PAD src0_sel:WORD_0 src1_sel:DWORD
	s_mov_b32 s6, s4
	v_mul_lo_u16 v49, 0x5a, v100
	v_add_co_u32 v56, s1, s8, v56
	v_add_co_ci_u32_e64 v57, s1, s9, v57, s1
	v_sub_nc_u16 v101, v55, v49
	v_cmp_gt_u32_e64 s1, 9, v48
	v_lshrrev_b32_e32 v49, 20, v51
	s_clause 0x1
	global_load_dwordx4 v[64:67], v[56:57], off offset:1392
	global_load_dwordx4 v[68:71], v[56:57], off offset:1408
	v_lshlrev_b32_sdwa v51, v58, v101 dst_sel:DWORD dst_unused:UNUSED_PAD src0_sel:DWORD src1_sel:BYTE_0
	v_cndmask_b32_e64 v102, v59, v50, s1
	v_mul_lo_u16 v49, 0x5a, v49
	global_load_dwordx4 v[72:75], v51, s[8:9] offset:1392
	v_lshlrev_b32_e32 v76, 1, v102
	v_sub_nc_u16 v49, v54, v49
	v_lshlrev_b64 v[58:59], 4, v[76:77]
	v_and_b32_e32 v49, 0xffff, v49
	v_add_co_u32 v58, s1, s8, v58
	v_add_co_ci_u32_e64 v59, s1, s9, v59, s1
	s_clause 0x1
	global_load_dwordx4 v[76:79], v51, s[8:9] offset:1408
	global_load_dwordx4 v[80:83], v[58:59], off offset:1392
	v_lshlrev_b32_e32 v51, 5, v49
	s_clause 0x2
	global_load_dwordx4 v[84:87], v[58:59], off offset:1408
	global_load_dwordx4 v[88:91], v51, s[8:9] offset:1392
	global_load_dwordx4 v[92:95], v51, s[8:9] offset:1408
	v_cmp_lt_u32_e64 s1, 8, v48
	v_mov_b32_e32 v51, 0x10e0
	s_waitcnt vmcnt(0) lgkmcnt(0)
	s_barrier
	buffer_gl0_inv
	v_mul_u32_u24_sdwa v51, v100, v51 dst_sel:DWORD dst_unused:UNUSED_PAD src0_sel:WORD_0 src1_sel:DWORD
	v_mul_f64 v[58:59], v[46:47], v[66:67]
	v_mul_f64 v[66:67], v[44:45], v[66:67]
	;; [unrolled: 1-line block ×6, first 2 shown]
	v_fma_f64 v[44:45], v[44:45], v[64:65], v[58:59]
	v_fma_f64 v[46:47], v[46:47], v[64:65], -v[66:67]
	v_mul_f64 v[58:59], v[34:35], v[78:79]
	v_mul_f64 v[64:65], v[32:33], v[78:79]
	;; [unrolled: 1-line block ×4, first 2 shown]
	v_fma_f64 v[40:41], v[40:41], v[68:69], v[96:97]
	v_fma_f64 v[42:43], v[42:43], v[68:69], -v[70:71]
	v_mul_f64 v[68:69], v[26:27], v[86:87]
	v_mul_f64 v[70:71], v[24:25], v[86:87]
	;; [unrolled: 1-line block ×4, first 2 shown]
	v_fma_f64 v[36:37], v[36:37], v[72:73], v[98:99]
	v_fma_f64 v[38:39], v[38:39], v[72:73], -v[74:75]
	v_mul_f64 v[72:73], v[16:17], v[90:91]
	v_mul_f64 v[74:75], v[20:21], v[94:95]
	v_fma_f64 v[32:33], v[32:33], v[76:77], v[58:59]
	v_fma_f64 v[34:35], v[34:35], v[76:77], -v[64:65]
	v_fma_f64 v[28:29], v[28:29], v[80:81], v[66:67]
	v_fma_f64 v[30:31], v[30:31], v[80:81], -v[78:79]
	v_add_f64 v[76:77], v[10:11], v[46:47]
	v_fma_f64 v[24:25], v[24:25], v[84:85], v[68:69]
	v_fma_f64 v[26:27], v[26:27], v[84:85], -v[70:71]
	v_fma_f64 v[16:17], v[16:17], v[88:89], v[82:83]
	v_fma_f64 v[58:59], v[20:21], v[92:93], v[86:87]
	v_add_f64 v[20:21], v[44:45], v[40:41]
	v_add_f64 v[82:83], v[12:13], v[36:37]
	v_fma_f64 v[18:19], v[18:19], v[88:89], -v[72:73]
	v_fma_f64 v[64:65], v[22:23], v[92:93], -v[74:75]
	v_add_f64 v[22:23], v[46:47], v[42:43]
	v_add_f64 v[72:73], v[8:9], v[44:45]
	v_add_f64 v[46:47], v[46:47], -v[42:43]
	v_add_f64 v[44:45], v[44:45], -v[40:41]
	v_add_f64 v[84:85], v[14:15], v[38:39]
	v_add_f64 v[66:67], v[36:37], v[32:33]
	;; [unrolled: 1-line block ×5, first 2 shown]
	v_add_f64 v[94:95], v[36:37], -v[32:33]
	v_add_f64 v[38:39], v[38:39], -v[34:35]
	v_add_f64 v[70:71], v[28:29], v[24:25]
	v_add_f64 v[74:75], v[30:31], v[26:27]
	;; [unrolled: 1-line block ×4, first 2 shown]
	v_fma_f64 v[8:9], v[20:21], -0.5, v[8:9]
	v_add_f64 v[96:97], v[28:29], -v[24:25]
	v_add_f64 v[92:93], v[2:3], v[18:19]
	v_add_f64 v[80:81], v[18:19], v[64:65]
	v_fma_f64 v[10:11], v[22:23], -0.5, v[10:11]
	v_fma_f64 v[36:37], v[66:67], -0.5, v[12:13]
	v_add_f64 v[66:67], v[30:31], -v[26:27]
	v_add_f64 v[12:13], v[72:73], v[40:41]
	v_fma_f64 v[68:69], v[68:69], -0.5, v[14:15]
	v_add_f64 v[14:15], v[76:77], v[42:43]
	v_add_f64 v[20:21], v[86:87], v[24:25]
	v_fma_f64 v[4:5], v[70:71], -0.5, v[4:5]
	v_add_f64 v[70:71], v[18:19], -v[64:65]
	v_fma_f64 v[6:7], v[74:75], -0.5, v[6:7]
	v_add_f64 v[74:75], v[16:17], -v[58:59]
	v_fma_f64 v[78:79], v[78:79], -0.5, v[0:1]
	v_add_f64 v[22:23], v[88:89], v[26:27]
	v_add_f64 v[0:1], v[90:91], v[58:59]
	v_fma_f64 v[72:73], v[80:81], -0.5, v[2:3]
	v_add_f64 v[2:3], v[92:93], v[64:65]
	v_fma_f64 v[24:25], v[46:47], s[4:5], v[8:9]
	v_fma_f64 v[28:29], v[46:47], s[6:7], v[8:9]
	;; [unrolled: 1-line block ×4, first 2 shown]
	v_add_f64 v[16:17], v[82:83], v[32:33]
	v_add_f64 v[18:19], v[84:85], v[34:35]
	v_mov_b32_e32 v58, 4
	v_fma_f64 v[32:33], v[38:39], s[4:5], v[36:37]
	v_fma_f64 v[36:37], v[38:39], s[6:7], v[36:37]
	v_cndmask_b32_e64 v59, 0, 0x10e0, s1
	v_fma_f64 v[34:35], v[94:95], s[6:7], v[68:69]
	v_fma_f64 v[38:39], v[94:95], s[4:5], v[68:69]
	v_lshlrev_b32_e32 v64, 4, v102
	v_fma_f64 v[40:41], v[66:67], s[4:5], v[4:5]
	v_fma_f64 v[44:45], v[66:67], s[6:7], v[4:5]
	;; [unrolled: 1-line block ×6, first 2 shown]
	v_lshlrev_b32_sdwa v58, v58, v101 dst_sel:DWORD dst_unused:UNUSED_PAD src0_sel:DWORD src1_sel:BYTE_0
	v_fma_f64 v[6:7], v[74:75], s[6:7], v[72:73]
	v_fma_f64 v[10:11], v[74:75], s[4:5], v[72:73]
	v_add3_u32 v59, 0, v59, v64
	ds_write_b128 v60, v[12:15]
	ds_write_b128 v60, v[24:27] offset:1440
	v_add3_u32 v12, 0, v51, v58
	ds_write_b128 v60, v[28:31] offset:2880
	ds_write_b128 v59, v[20:23]
	ds_write_b128 v59, v[40:43] offset:1440
	ds_write_b128 v59, v[44:47] offset:2880
	ds_write_b128 v12, v[16:19]
	ds_write_b128 v12, v[32:35] offset:1440
	ds_write_b128 v12, v[36:39] offset:2880
	s_and_saveexec_b32 s1, s0
	s_cbranch_execz .LBB0_23
; %bb.22:
	v_lshl_add_u32 v12, v49, 4, 0
	ds_write_b128 v12, v[0:3] offset:8640
	ds_write_b128 v12, v[4:7] offset:10080
	;; [unrolled: 1-line block ×3, first 2 shown]
.LBB0_23:
	s_or_b32 exec_lo, exec_lo, s1
	s_waitcnt lgkmcnt(0)
	s_barrier
	buffer_gl0_inv
	ds_read_b128 v[16:19], v60
	ds_read_b128 v[28:31], v60 offset:4320
	ds_read_b128 v[32:35], v60 offset:8640
	;; [unrolled: 1-line block ×3, first 2 shown]
	ds_read_b128 v[20:23], v63
	ds_read_b128 v[12:15], v62
	ds_read_b128 v[44:47], v60 offset:5616
	ds_read_b128 v[36:39], v60 offset:6912
	;; [unrolled: 1-line block ×3, first 2 shown]
	s_and_saveexec_b32 s1, s0
	s_cbranch_execz .LBB0_25
; %bb.24:
	ds_read_b128 v[0:3], v61
	ds_read_b128 v[4:7], v60 offset:8208
	ds_read_b128 v[8:11], v60 offset:12528
.LBB0_25:
	s_or_b32 exec_lo, exec_lo, s1
	v_lshlrev_b32_e32 v58, 1, v50
	v_mov_b32_e32 v59, 0
	v_add_co_u32 v64, s1, 0x1000, v56
	v_add_co_ci_u32_e64 v65, s1, 0, v57, s1
	v_lshlrev_b64 v[72:73], 4, v[58:59]
	v_add_co_u32 v56, s1, 0x10b0, v56
	v_lshlrev_b32_e32 v58, 1, v55
	v_add_co_ci_u32_e64 v57, s1, 0, v57, s1
	v_add_co_u32 v49, s1, s8, v72
	s_clause 0x1
	global_load_dwordx4 v[64:67], v[64:65], off offset:176
	global_load_dwordx4 v[68:71], v[56:57], off offset:16
	v_add_co_ci_u32_e64 v51, s1, s9, v73, s1
	v_lshlrev_b64 v[56:57], 4, v[58:59]
	v_add_co_u32 v76, s1, 0x10b0, v49
	v_add_co_ci_u32_e64 v77, s1, 0, v51, s1
	s_mov_b32 s6, s4
	v_add_co_u32 v58, s1, s8, v56
	v_add_co_ci_u32_e64 v72, s1, s9, v57, s1
	v_add_co_u32 v56, s1, 0x1000, v49
	v_add_co_ci_u32_e64 v57, s1, 0, v51, s1
	;; [unrolled: 2-line block ×4, first 2 shown]
	s_clause 0x3
	global_load_dwordx4 v[72:75], v[56:57], off offset:176
	global_load_dwordx4 v[76:79], v[76:77], off offset:16
	;; [unrolled: 1-line block ×4, first 2 shown]
	s_waitcnt vmcnt(0) lgkmcnt(0)
	s_barrier
	buffer_gl0_inv
	v_mul_f64 v[56:57], v[30:31], v[66:67]
	v_mul_f64 v[88:89], v[34:35], v[70:71]
	;; [unrolled: 1-line block ×4, first 2 shown]
	v_fma_f64 v[28:29], v[28:29], v[64:65], v[56:57]
	v_mul_f64 v[90:91], v[46:47], v[74:75]
	v_mul_f64 v[92:93], v[26:27], v[78:79]
	;; [unrolled: 1-line block ×8, first 2 shown]
	v_fma_f64 v[32:33], v[32:33], v[68:69], v[88:89]
	v_fma_f64 v[30:31], v[30:31], v[64:65], -v[66:67]
	v_fma_f64 v[34:35], v[34:35], v[68:69], -v[70:71]
	v_fma_f64 v[44:45], v[44:45], v[72:73], v[90:91]
	v_fma_f64 v[24:25], v[24:25], v[76:77], v[92:93]
	v_fma_f64 v[46:47], v[46:47], v[72:73], -v[74:75]
	v_fma_f64 v[26:27], v[26:27], v[76:77], -v[78:79]
	v_fma_f64 v[36:37], v[36:37], v[80:81], v[94:95]
	v_fma_f64 v[40:41], v[40:41], v[84:85], v[96:97]
	v_fma_f64 v[38:39], v[38:39], v[80:81], -v[82:83]
	v_fma_f64 v[42:43], v[42:43], v[84:85], -v[86:87]
	v_add_f64 v[56:57], v[28:29], v[32:33]
	v_add_f64 v[74:75], v[16:17], v[28:29]
	;; [unrolled: 1-line block ×3, first 2 shown]
	v_add_f64 v[76:77], v[30:31], -v[34:35]
	v_add_f64 v[30:31], v[18:19], v[30:31]
	v_add_f64 v[86:87], v[28:29], -v[32:33]
	v_add_f64 v[78:79], v[20:21], v[44:45]
	v_add_f64 v[66:67], v[44:45], v[24:25]
	;; [unrolled: 1-line block ×4, first 2 shown]
	v_add_f64 v[46:47], v[46:47], -v[26:27]
	v_add_f64 v[70:71], v[36:37], v[40:41]
	v_add_f64 v[44:45], v[44:45], -v[24:25]
	v_add_f64 v[72:73], v[38:39], v[42:43]
	v_fma_f64 v[56:57], v[56:57], -0.5, v[16:17]
	v_add_f64 v[82:83], v[12:13], v[36:37]
	v_fma_f64 v[64:65], v[64:65], -0.5, v[18:19]
	v_add_f64 v[84:85], v[14:15], v[38:39]
	v_add_f64 v[88:89], v[38:39], -v[42:43]
	v_add_f64 v[90:91], v[36:37], -v[40:41]
	v_add_f64 v[16:17], v[78:79], v[24:25]
	v_fma_f64 v[66:67], v[66:67], -0.5, v[20:21]
	v_add_f64 v[18:19], v[80:81], v[26:27]
	v_fma_f64 v[68:69], v[68:69], -0.5, v[22:23]
	v_fma_f64 v[70:71], v[70:71], -0.5, v[12:13]
	v_add_f64 v[12:13], v[74:75], v[32:33]
	v_fma_f64 v[72:73], v[72:73], -0.5, v[14:15]
	v_add_f64 v[14:15], v[30:31], v[34:35]
	v_fma_f64 v[24:25], v[76:77], s[4:5], v[56:57]
	v_fma_f64 v[26:27], v[86:87], s[6:7], v[64:65]
	;; [unrolled: 1-line block ×4, first 2 shown]
	v_add_f64 v[20:21], v[82:83], v[40:41]
	v_add_f64 v[22:23], v[84:85], v[42:43]
	v_fma_f64 v[32:33], v[46:47], s[4:5], v[66:67]
	v_fma_f64 v[36:37], v[46:47], s[6:7], v[66:67]
	;; [unrolled: 1-line block ×8, first 2 shown]
	ds_write_b128 v60, v[12:15]
	ds_write_b128 v60, v[24:27] offset:4320
	ds_write_b128 v60, v[28:31] offset:8640
	ds_write_b128 v63, v[16:19]
	ds_write_b128 v63, v[32:35] offset:4320
	ds_write_b128 v63, v[36:39] offset:8640
	;; [unrolled: 3-line block ×3, first 2 shown]
	s_and_saveexec_b32 s1, s0
	s_cbranch_execz .LBB0_27
; %bb.26:
	v_subrev_nc_u32_e32 v12, 27, v48
	v_cndmask_b32_e64 v12, v12, v54, s0
	v_lshlrev_b32_e32 v58, 1, v12
	v_lshlrev_b64 v[12:13], 4, v[58:59]
	v_add_co_u32 v14, s0, s8, v12
	v_add_co_ci_u32_e64 v15, s0, s9, v13, s0
	v_add_co_u32 v12, s0, 0x1000, v14
	v_add_co_ci_u32_e64 v13, s0, 0, v15, s0
	;; [unrolled: 2-line block ×3, first 2 shown]
	s_clause 0x1
	global_load_dwordx4 v[12:15], v[12:13], off offset:176
	global_load_dwordx4 v[16:19], v[16:17], off offset:16
	s_waitcnt vmcnt(1)
	v_mul_f64 v[20:21], v[4:5], v[14:15]
	s_waitcnt vmcnt(0)
	v_mul_f64 v[22:23], v[8:9], v[18:19]
	v_mul_f64 v[14:15], v[6:7], v[14:15]
	v_mul_f64 v[18:19], v[10:11], v[18:19]
	v_fma_f64 v[6:7], v[6:7], v[12:13], -v[20:21]
	v_fma_f64 v[10:11], v[10:11], v[16:17], -v[22:23]
	v_fma_f64 v[4:5], v[4:5], v[12:13], v[14:15]
	v_fma_f64 v[8:9], v[8:9], v[16:17], v[18:19]
	v_add_f64 v[18:19], v[2:3], v[6:7]
	v_add_f64 v[12:13], v[6:7], v[10:11]
	v_add_f64 v[20:21], v[6:7], -v[10:11]
	v_add_f64 v[14:15], v[4:5], v[8:9]
	v_add_f64 v[16:17], v[4:5], -v[8:9]
	v_add_f64 v[4:5], v[0:1], v[4:5]
	v_fma_f64 v[12:13], v[12:13], -0.5, v[2:3]
	v_add_f64 v[2:3], v[18:19], v[10:11]
	v_fma_f64 v[14:15], v[14:15], -0.5, v[0:1]
	v_add_f64 v[0:1], v[4:5], v[8:9]
	v_fma_f64 v[10:11], v[16:17], s[6:7], v[12:13]
	v_fma_f64 v[6:7], v[16:17], s[4:5], v[12:13]
	;; [unrolled: 1-line block ×4, first 2 shown]
	ds_write_b128 v60, v[0:3] offset:3888
	ds_write_b128 v60, v[8:11] offset:8208
	;; [unrolled: 1-line block ×3, first 2 shown]
.LBB0_27:
	s_or_b32 exec_lo, exec_lo, s1
	s_waitcnt lgkmcnt(0)
	s_barrier
	buffer_gl0_inv
	ds_read_b128 v[4:7], v60
	v_lshlrev_b32_e32 v0, 4, v48
	s_add_u32 s1, s8, 0x3270
	s_addc_u32 s4, s9, 0
	s_mov_b32 s5, exec_lo
                                        ; implicit-def: $vgpr8_vgpr9
                                        ; implicit-def: $vgpr10_vgpr11
	v_sub_nc_u32_e32 v12, 0, v0
                                        ; implicit-def: $vgpr0_vgpr1
	v_cmpx_ne_u32_e32 0, v48
	s_xor_b32 s5, exec_lo, s5
	s_cbranch_execz .LBB0_29
; %bb.28:
	v_mov_b32_e32 v49, 0
	v_lshlrev_b64 v[0:1], 4, v[48:49]
	v_add_co_u32 v0, s0, s1, v0
	v_add_co_ci_u32_e64 v1, s0, s4, v1, s0
	global_load_dwordx4 v[13:16], v[0:1], off
	ds_read_b128 v[0:3], v12 offset:12960
	s_waitcnt lgkmcnt(0)
	v_add_f64 v[8:9], v[4:5], -v[0:1]
	v_add_f64 v[10:11], v[6:7], v[2:3]
	v_add_f64 v[2:3], v[6:7], -v[2:3]
	v_add_f64 v[0:1], v[4:5], v[0:1]
	v_mul_f64 v[6:7], v[8:9], 0.5
	v_mul_f64 v[4:5], v[10:11], 0.5
	;; [unrolled: 1-line block ×3, first 2 shown]
	s_waitcnt vmcnt(0)
	v_mul_f64 v[8:9], v[6:7], v[15:16]
	v_fma_f64 v[10:11], v[4:5], v[15:16], v[2:3]
	v_fma_f64 v[2:3], v[4:5], v[15:16], -v[2:3]
	v_fma_f64 v[17:18], v[0:1], 0.5, v[8:9]
	v_fma_f64 v[0:1], v[0:1], 0.5, -v[8:9]
	v_fma_f64 v[10:11], -v[13:14], v[6:7], v[10:11]
	v_fma_f64 v[2:3], -v[13:14], v[6:7], v[2:3]
	v_fma_f64 v[8:9], v[4:5], v[13:14], v[17:18]
	v_fma_f64 v[0:1], -v[4:5], v[13:14], v[0:1]
                                        ; implicit-def: $vgpr4_vgpr5
.LBB0_29:
	s_andn2_saveexec_b32 s0, s5
	s_cbranch_execz .LBB0_31
; %bb.30:
	v_mov_b32_e32 v15, 0
	s_waitcnt lgkmcnt(0)
	v_add_f64 v[8:9], v[4:5], v[6:7]
	v_add_f64 v[0:1], v[4:5], -v[6:7]
	v_mov_b32_e32 v10, 0
	v_mov_b32_e32 v11, 0
	ds_read_b64 v[13:14], v15 offset:6488
	v_mov_b32_e32 v2, v10
	v_mov_b32_e32 v3, v11
	s_waitcnt lgkmcnt(0)
	v_xor_b32_e32 v14, 0x80000000, v14
	ds_write_b64 v15, v[13:14] offset:6488
.LBB0_31:
	s_or_b32 exec_lo, exec_lo, s0
	v_mov_b32_e32 v51, 0
	ds_write2_b64 v60, v[8:9], v[10:11] offset1:1
	ds_write_b128 v12, v[0:3] offset:12960
	s_waitcnt lgkmcnt(2)
	v_lshlrev_b64 v[4:5], 4, v[50:51]
	v_mov_b32_e32 v56, v51
	v_add_nc_u32_e32 v50, 0x144, v48
	v_lshlrev_b64 v[13:14], 4, v[55:56]
	v_add_co_u32 v4, s0, s1, v4
	v_add_co_ci_u32_e64 v5, s0, s4, v5, s0
	v_mov_b32_e32 v55, v51
	v_add_co_u32 v13, s0, s1, v13
	global_load_dwordx4 v[4:7], v[4:5], off
	v_add_co_ci_u32_e64 v14, s0, s4, v14, s0
	v_lshlrev_b64 v[17:18], 4, v[54:55]
	global_load_dwordx4 v[13:16], v[13:14], off
	ds_read_b128 v[0:3], v63
	ds_read_b128 v[8:11], v12 offset:11664
	v_add_co_u32 v17, s0, s1, v17
	v_add_co_ci_u32_e64 v18, s0, s4, v18, s0
	global_load_dwordx4 v[17:20], v[17:18], off
	s_waitcnt lgkmcnt(0)
	v_add_f64 v[21:22], v[0:1], -v[8:9]
	v_add_f64 v[23:24], v[2:3], v[10:11]
	v_add_f64 v[2:3], v[2:3], -v[10:11]
	v_add_f64 v[0:1], v[0:1], v[8:9]
	v_mul_f64 v[10:11], v[21:22], 0.5
	v_mul_f64 v[21:22], v[23:24], 0.5
	;; [unrolled: 1-line block ×3, first 2 shown]
	s_waitcnt vmcnt(2)
	v_mul_f64 v[8:9], v[10:11], v[6:7]
	v_fma_f64 v[23:24], v[21:22], v[6:7], v[2:3]
	v_fma_f64 v[2:3], v[21:22], v[6:7], -v[2:3]
	v_fma_f64 v[6:7], v[0:1], 0.5, v[8:9]
	v_fma_f64 v[0:1], v[0:1], 0.5, -v[8:9]
	v_fma_f64 v[8:9], -v[4:5], v[10:11], v[23:24]
	v_fma_f64 v[2:3], -v[4:5], v[10:11], v[2:3]
	v_lshlrev_b64 v[10:11], 4, v[50:51]
	v_fma_f64 v[6:7], v[21:22], v[4:5], v[6:7]
	v_fma_f64 v[0:1], -v[21:22], v[4:5], v[0:1]
	ds_write_b64 v63, v[8:9] offset:8
	ds_write_b64 v12, v[2:3] offset:11672
	ds_write_b64 v63, v[6:7]
	ds_write_b64 v12, v[0:1] offset:11664
	v_add_co_u32 v8, s0, s1, v10
	v_add_co_ci_u32_e64 v9, s0, s4, v11, s0
	ds_read_b128 v[0:3], v62
	ds_read_b128 v[4:7], v12 offset:10368
	global_load_dwordx4 v[8:11], v[8:9], off
	s_waitcnt lgkmcnt(0)
	v_add_f64 v[21:22], v[0:1], -v[4:5]
	v_add_f64 v[23:24], v[2:3], v[6:7]
	v_add_f64 v[2:3], v[2:3], -v[6:7]
	v_add_f64 v[0:1], v[0:1], v[4:5]
	v_mul_f64 v[6:7], v[21:22], 0.5
	v_mul_f64 v[21:22], v[23:24], 0.5
	;; [unrolled: 1-line block ×3, first 2 shown]
	s_waitcnt vmcnt(2)
	v_mul_f64 v[4:5], v[6:7], v[15:16]
	v_fma_f64 v[23:24], v[21:22], v[15:16], v[2:3]
	v_fma_f64 v[2:3], v[21:22], v[15:16], -v[2:3]
	v_fma_f64 v[15:16], v[0:1], 0.5, v[4:5]
	v_fma_f64 v[0:1], v[0:1], 0.5, -v[4:5]
	v_fma_f64 v[4:5], -v[13:14], v[6:7], v[23:24]
	v_fma_f64 v[2:3], -v[13:14], v[6:7], v[2:3]
	v_fma_f64 v[6:7], v[21:22], v[13:14], v[15:16]
	v_fma_f64 v[0:1], -v[21:22], v[13:14], v[0:1]
	ds_write_b64 v62, v[4:5] offset:8
	ds_write_b64 v12, v[2:3] offset:10376
	ds_write_b64 v62, v[6:7]
	ds_write_b64 v12, v[0:1] offset:10368
	ds_read_b128 v[0:3], v61
	ds_read_b128 v[4:7], v12 offset:9072
	s_waitcnt lgkmcnt(0)
	v_add_f64 v[13:14], v[0:1], -v[4:5]
	v_add_f64 v[15:16], v[2:3], v[6:7]
	v_add_f64 v[2:3], v[2:3], -v[6:7]
	v_add_f64 v[0:1], v[0:1], v[4:5]
	v_mul_f64 v[6:7], v[13:14], 0.5
	v_mul_f64 v[13:14], v[15:16], 0.5
	;; [unrolled: 1-line block ×3, first 2 shown]
	s_waitcnt vmcnt(1)
	v_mul_f64 v[4:5], v[6:7], v[19:20]
	v_fma_f64 v[15:16], v[13:14], v[19:20], v[2:3]
	v_fma_f64 v[2:3], v[13:14], v[19:20], -v[2:3]
	v_fma_f64 v[19:20], v[0:1], 0.5, v[4:5]
	v_fma_f64 v[0:1], v[0:1], 0.5, -v[4:5]
	v_fma_f64 v[4:5], -v[17:18], v[6:7], v[15:16]
	v_fma_f64 v[2:3], -v[17:18], v[6:7], v[2:3]
	v_fma_f64 v[6:7], v[13:14], v[17:18], v[19:20]
	v_fma_f64 v[0:1], -v[13:14], v[17:18], v[0:1]
	ds_write2_b64 v61, v[6:7], v[4:5] offset1:1
	ds_write_b128 v12, v[0:3] offset:9072
	ds_read_b128 v[0:3], v60 offset:5184
	ds_read_b128 v[4:7], v12 offset:7776
	s_waitcnt lgkmcnt(0)
	v_add_f64 v[13:14], v[0:1], -v[4:5]
	v_add_f64 v[15:16], v[2:3], v[6:7]
	v_add_f64 v[2:3], v[2:3], -v[6:7]
	v_add_f64 v[0:1], v[0:1], v[4:5]
	v_mul_f64 v[6:7], v[13:14], 0.5
	v_mul_f64 v[13:14], v[15:16], 0.5
	;; [unrolled: 1-line block ×3, first 2 shown]
	s_waitcnt vmcnt(0)
	v_mul_f64 v[4:5], v[6:7], v[10:11]
	v_fma_f64 v[15:16], v[13:14], v[10:11], v[2:3]
	v_fma_f64 v[2:3], v[13:14], v[10:11], -v[2:3]
	v_fma_f64 v[10:11], v[0:1], 0.5, v[4:5]
	v_fma_f64 v[0:1], v[0:1], 0.5, -v[4:5]
	v_fma_f64 v[4:5], -v[8:9], v[6:7], v[15:16]
	v_fma_f64 v[2:3], -v[8:9], v[6:7], v[2:3]
	v_fma_f64 v[6:7], v[13:14], v[8:9], v[10:11]
	v_fma_f64 v[0:1], -v[13:14], v[8:9], v[0:1]
	v_add_nc_u32_e32 v8, 0x1000, v60
	ds_write2_b64 v8, v[6:7], v[4:5] offset0:136 offset1:137
	ds_write_b128 v12, v[0:3] offset:7776
	s_waitcnt lgkmcnt(0)
	s_barrier
	buffer_gl0_inv
	s_and_saveexec_b32 s0, vcc_lo
	s_cbranch_execz .LBB0_34
; %bb.32:
	v_mov_b32_e32 v49, v51
	ds_read_b128 v[2:5], v60
	ds_read_b128 v[6:9], v60 offset:1296
	ds_read_b128 v[10:13], v60 offset:2592
	v_add_co_u32 v0, vcc_lo, s2, v52
	v_add_co_ci_u32_e32 v1, vcc_lo, s3, v53, vcc_lo
	v_lshlrev_b64 v[18:19], 4, v[48:49]
	ds_read_b128 v[14:17], v60 offset:3888
	v_add_co_u32 v30, vcc_lo, v0, v18
	v_add_co_ci_u32_e32 v31, vcc_lo, v1, v19, vcc_lo
	ds_read_b128 v[18:21], v60 offset:5184
	v_add_co_u32 v32, vcc_lo, 0x800, v30
	v_add_co_ci_u32_e32 v33, vcc_lo, 0, v31, vcc_lo
	s_waitcnt lgkmcnt(4)
	global_store_dwordx4 v[30:31], v[2:5], off
	s_waitcnt lgkmcnt(3)
	global_store_dwordx4 v[30:31], v[6:9], off offset:1296
	s_waitcnt lgkmcnt(2)
	global_store_dwordx4 v[32:33], v[10:13], off offset:544
	ds_read_b128 v[2:5], v60 offset:6480
	v_add_co_u32 v34, vcc_lo, 0x1000, v30
	ds_read_b128 v[6:9], v60 offset:7776
	ds_read_b128 v[10:13], v60 offset:9072
	;; [unrolled: 1-line block ×4, first 2 shown]
	v_add_co_ci_u32_e32 v35, vcc_lo, 0, v31, vcc_lo
	s_waitcnt lgkmcnt(6)
	global_store_dwordx4 v[32:33], v[14:17], off offset:1840
	s_waitcnt lgkmcnt(5)
	global_store_dwordx4 v[34:35], v[18:21], off offset:1088
	v_add_co_u32 v14, vcc_lo, 0x1800, v30
	v_add_co_ci_u32_e32 v15, vcc_lo, 0, v31, vcc_lo
	v_add_co_u32 v16, vcc_lo, 0x2000, v30
	v_add_co_ci_u32_e32 v17, vcc_lo, 0, v31, vcc_lo
	;; [unrolled: 2-line block ×3, first 2 shown]
	v_cmp_eq_u32_e32 vcc_lo, 0x50, v48
	s_waitcnt lgkmcnt(4)
	global_store_dwordx4 v[14:15], v[2:5], off offset:336
	s_waitcnt lgkmcnt(3)
	global_store_dwordx4 v[14:15], v[6:9], off offset:1632
	;; [unrolled: 2-line block ×5, first 2 shown]
	s_and_b32 exec_lo, exec_lo, vcc_lo
	s_cbranch_execz .LBB0_34
; %bb.33:
	v_mov_b32_e32 v2, 0
	v_add_co_u32 v0, vcc_lo, 0x3000, v0
	v_add_co_ci_u32_e32 v1, vcc_lo, 0, v1, vcc_lo
	ds_read_b128 v[2:5], v2 offset:12960
	s_waitcnt lgkmcnt(0)
	global_store_dwordx4 v[0:1], v[2:5], off offset:672
.LBB0_34:
	s_endpgm
	.section	.rodata,"a",@progbits
	.p2align	6, 0x0
	.amdhsa_kernel fft_rtc_back_len810_factors_3_10_3_3_3_wgs_81_tpt_81_halfLds_dp_ip_CI_unitstride_sbrr_R2C_dirReg
		.amdhsa_group_segment_fixed_size 0
		.amdhsa_private_segment_fixed_size 0
		.amdhsa_kernarg_size 88
		.amdhsa_user_sgpr_count 6
		.amdhsa_user_sgpr_private_segment_buffer 1
		.amdhsa_user_sgpr_dispatch_ptr 0
		.amdhsa_user_sgpr_queue_ptr 0
		.amdhsa_user_sgpr_kernarg_segment_ptr 1
		.amdhsa_user_sgpr_dispatch_id 0
		.amdhsa_user_sgpr_flat_scratch_init 0
		.amdhsa_user_sgpr_private_segment_size 0
		.amdhsa_wavefront_size32 1
		.amdhsa_uses_dynamic_stack 0
		.amdhsa_system_sgpr_private_segment_wavefront_offset 0
		.amdhsa_system_sgpr_workgroup_id_x 1
		.amdhsa_system_sgpr_workgroup_id_y 0
		.amdhsa_system_sgpr_workgroup_id_z 0
		.amdhsa_system_sgpr_workgroup_info 0
		.amdhsa_system_vgpr_workitem_id 0
		.amdhsa_next_free_vgpr 105
		.amdhsa_next_free_sgpr 22
		.amdhsa_reserve_vcc 1
		.amdhsa_reserve_flat_scratch 0
		.amdhsa_float_round_mode_32 0
		.amdhsa_float_round_mode_16_64 0
		.amdhsa_float_denorm_mode_32 3
		.amdhsa_float_denorm_mode_16_64 3
		.amdhsa_dx10_clamp 1
		.amdhsa_ieee_mode 1
		.amdhsa_fp16_overflow 0
		.amdhsa_workgroup_processor_mode 1
		.amdhsa_memory_ordered 1
		.amdhsa_forward_progress 0
		.amdhsa_shared_vgpr_count 0
		.amdhsa_exception_fp_ieee_invalid_op 0
		.amdhsa_exception_fp_denorm_src 0
		.amdhsa_exception_fp_ieee_div_zero 0
		.amdhsa_exception_fp_ieee_overflow 0
		.amdhsa_exception_fp_ieee_underflow 0
		.amdhsa_exception_fp_ieee_inexact 0
		.amdhsa_exception_int_div_zero 0
	.end_amdhsa_kernel
	.text
.Lfunc_end0:
	.size	fft_rtc_back_len810_factors_3_10_3_3_3_wgs_81_tpt_81_halfLds_dp_ip_CI_unitstride_sbrr_R2C_dirReg, .Lfunc_end0-fft_rtc_back_len810_factors_3_10_3_3_3_wgs_81_tpt_81_halfLds_dp_ip_CI_unitstride_sbrr_R2C_dirReg
                                        ; -- End function
	.section	.AMDGPU.csdata,"",@progbits
; Kernel info:
; codeLenInByte = 9872
; NumSgprs: 24
; NumVgprs: 105
; ScratchSize: 0
; MemoryBound: 0
; FloatMode: 240
; IeeeMode: 1
; LDSByteSize: 0 bytes/workgroup (compile time only)
; SGPRBlocks: 2
; VGPRBlocks: 13
; NumSGPRsForWavesPerEU: 24
; NumVGPRsForWavesPerEU: 105
; Occupancy: 9
; WaveLimiterHint : 1
; COMPUTE_PGM_RSRC2:SCRATCH_EN: 0
; COMPUTE_PGM_RSRC2:USER_SGPR: 6
; COMPUTE_PGM_RSRC2:TRAP_HANDLER: 0
; COMPUTE_PGM_RSRC2:TGID_X_EN: 1
; COMPUTE_PGM_RSRC2:TGID_Y_EN: 0
; COMPUTE_PGM_RSRC2:TGID_Z_EN: 0
; COMPUTE_PGM_RSRC2:TIDIG_COMP_CNT: 0
	.text
	.p2alignl 6, 3214868480
	.fill 48, 4, 3214868480
	.type	__hip_cuid_80d8c1e5c4a19282,@object ; @__hip_cuid_80d8c1e5c4a19282
	.section	.bss,"aw",@nobits
	.globl	__hip_cuid_80d8c1e5c4a19282
__hip_cuid_80d8c1e5c4a19282:
	.byte	0                               ; 0x0
	.size	__hip_cuid_80d8c1e5c4a19282, 1

	.ident	"AMD clang version 19.0.0git (https://github.com/RadeonOpenCompute/llvm-project roc-6.4.0 25133 c7fe45cf4b819c5991fe208aaa96edf142730f1d)"
	.section	".note.GNU-stack","",@progbits
	.addrsig
	.addrsig_sym __hip_cuid_80d8c1e5c4a19282
	.amdgpu_metadata
---
amdhsa.kernels:
  - .args:
      - .actual_access:  read_only
        .address_space:  global
        .offset:         0
        .size:           8
        .value_kind:     global_buffer
      - .offset:         8
        .size:           8
        .value_kind:     by_value
      - .actual_access:  read_only
        .address_space:  global
        .offset:         16
        .size:           8
        .value_kind:     global_buffer
      - .actual_access:  read_only
        .address_space:  global
        .offset:         24
        .size:           8
        .value_kind:     global_buffer
      - .offset:         32
        .size:           8
        .value_kind:     by_value
      - .actual_access:  read_only
        .address_space:  global
        .offset:         40
        .size:           8
        .value_kind:     global_buffer
      - .actual_access:  read_only
        .address_space:  global
        .offset:         48
        .size:           8
        .value_kind:     global_buffer
      - .offset:         56
        .size:           4
        .value_kind:     by_value
      - .actual_access:  read_only
        .address_space:  global
        .offset:         64
        .size:           8
        .value_kind:     global_buffer
      - .actual_access:  read_only
        .address_space:  global
        .offset:         72
        .size:           8
        .value_kind:     global_buffer
      - .address_space:  global
        .offset:         80
        .size:           8
        .value_kind:     global_buffer
    .group_segment_fixed_size: 0
    .kernarg_segment_align: 8
    .kernarg_segment_size: 88
    .language:       OpenCL C
    .language_version:
      - 2
      - 0
    .max_flat_workgroup_size: 81
    .name:           fft_rtc_back_len810_factors_3_10_3_3_3_wgs_81_tpt_81_halfLds_dp_ip_CI_unitstride_sbrr_R2C_dirReg
    .private_segment_fixed_size: 0
    .sgpr_count:     24
    .sgpr_spill_count: 0
    .symbol:         fft_rtc_back_len810_factors_3_10_3_3_3_wgs_81_tpt_81_halfLds_dp_ip_CI_unitstride_sbrr_R2C_dirReg.kd
    .uniform_work_group_size: 1
    .uses_dynamic_stack: false
    .vgpr_count:     105
    .vgpr_spill_count: 0
    .wavefront_size: 32
    .workgroup_processor_mode: 1
amdhsa.target:   amdgcn-amd-amdhsa--gfx1030
amdhsa.version:
  - 1
  - 2
...

	.end_amdgpu_metadata
